;; amdgpu-corpus repo=ROCm/rocFFT kind=compiled arch=gfx1201 opt=O3
	.text
	.amdgcn_target "amdgcn-amd-amdhsa--gfx1201"
	.amdhsa_code_object_version 6
	.protected	fft_rtc_fwd_len50_factors_10_5_wgs_50_tpt_5_dp_op_CI_CI_sbrc_aligned ; -- Begin function fft_rtc_fwd_len50_factors_10_5_wgs_50_tpt_5_dp_op_CI_CI_sbrc_aligned
	.globl	fft_rtc_fwd_len50_factors_10_5_wgs_50_tpt_5_dp_op_CI_CI_sbrc_aligned
	.p2align	8
	.type	fft_rtc_fwd_len50_factors_10_5_wgs_50_tpt_5_dp_op_CI_CI_sbrc_aligned,@function
fft_rtc_fwd_len50_factors_10_5_wgs_50_tpt_5_dp_op_CI_CI_sbrc_aligned: ; @fft_rtc_fwd_len50_factors_10_5_wgs_50_tpt_5_dp_op_CI_CI_sbrc_aligned
; %bb.0:
	s_clause 0x1
	s_load_b256 s[4:11], s[0:1], 0x0
	s_load_b64 s[24:25], s[0:1], 0x20
	s_mov_b32 s31, 0
	s_mov_b64 s[36:37], 2
	s_mov_b32 s27, s31
	s_wait_kmcnt 0x0
	s_load_b32 s2, s[8:9], 0x8
	s_load_b128 s[16:19], s[10:11], 0x0
	s_load_b128 s[12:15], s[24:25], 0x0
	s_wait_kmcnt 0x0
	s_add_co_i32 s2, s2, -1
	s_delay_alu instid0(SALU_CYCLE_1) | instskip(NEXT) | instid1(SALU_CYCLE_1)
	s_mul_hi_u32 s2, s2, 0xcccccccd
	s_lshr_b32 s2, s2, 3
	s_delay_alu instid0(SALU_CYCLE_1) | instskip(NEXT) | instid1(SALU_CYCLE_1)
	s_add_co_i32 s33, s2, 1
	s_cvt_f32_u32 s2, s33
	s_sub_co_i32 s3, 0, s33
	s_delay_alu instid0(SALU_CYCLE_2) | instskip(NEXT) | instid1(TRANS32_DEP_1)
	v_rcp_iflag_f32_e32 v1, s2
	v_readfirstlane_b32 s2, v1
	s_delay_alu instid0(VALU_DEP_1) | instskip(SKIP_1) | instid1(SALU_CYCLE_2)
	s_mul_f32 s2, s2, 0x4f7ffffe
	s_wait_alu 0xfffe
	s_cvt_u32_f32 s2, s2
	s_wait_alu 0xfffe
	s_delay_alu instid0(SALU_CYCLE_2)
	s_mul_i32 s3, s3, s2
	s_wait_alu 0xfffe
	s_mul_hi_u32 s3, s2, s3
	s_wait_alu 0xfffe
	s_add_co_i32 s2, s2, s3
	s_wait_alu 0xfffe
	s_mul_hi_u32 s3, ttmp9, s2
	s_wait_alu 0xfffe
	s_mul_i32 s2, s3, s33
	s_add_co_i32 s19, s3, 1
	s_wait_alu 0xfffe
	s_sub_co_i32 s15, ttmp9, s2
	s_mov_b32 s2, 3
	s_sub_co_i32 s20, s15, s33
	s_cmp_ge_u32 s15, s33
	s_cselect_b32 s3, s19, s3
	s_cselect_b32 s15, s20, s15
	s_wait_alu 0xfffe
	s_add_co_i32 s19, s3, 1
	s_cmp_ge_u32 s15, s33
	s_cselect_b32 s22, s19, s3
	v_cmp_gt_u64_e64 s3, s[6:7], 2
	s_mul_i32 s15, s22, s33
	s_delay_alu instid0(SALU_CYCLE_1) | instskip(NEXT) | instid1(SALU_CYCLE_1)
	s_sub_co_i32 s15, ttmp9, s15
	s_mul_i32 s26, s15, 10
	s_delay_alu instid0(VALU_DEP_1)
	s_and_b32 vcc_lo, exec_lo, s3
	s_mul_i32 s30, s26, s18
	s_mul_u64 s[20:21], s[12:13], s[26:27]
	s_cbranch_vccz .LBB0_8
; %bb.1:
	s_mov_b32 s34, ttmp9
	s_mov_b32 s35, s31
	s_mov_b64 s[28:29], s[30:31]
	s_mov_b32 s30, s22
.LBB0_2:                                ; =>This Inner Loop Header: Depth=1
	s_lshl_b64 s[36:37], s[36:37], 3
	s_mov_b32 s38, s31
	s_add_nc_u64 s[22:23], s[8:9], s[36:37]
	s_load_b64 s[22:23], s[22:23], 0x0
	s_wait_kmcnt 0x0
	s_mov_b32 s39, s23
	s_delay_alu instid0(SALU_CYCLE_1)
	s_cmp_lg_u64 s[38:39], 0
	s_cbranch_scc0 .LBB0_7
; %bb.3:                                ;   in Loop: Header=BB0_2 Depth=1
	s_cvt_f32_u32 s3, s22
	s_cvt_f32_u32 s15, s23
	s_sub_nc_u64 s[42:43], 0, s[22:23]
	s_mov_b32 s39, 0
	s_mov_b32 s47, s31
	s_wait_alu 0xfffe
	s_fmamk_f32 s3, s15, 0x4f800000, s3
	s_wait_alu 0xfffe
	s_delay_alu instid0(SALU_CYCLE_2) | instskip(NEXT) | instid1(TRANS32_DEP_1)
	v_s_rcp_f32 s3, s3
	s_mul_f32 s3, s3, 0x5f7ffffc
	s_wait_alu 0xfffe
	s_delay_alu instid0(SALU_CYCLE_2) | instskip(NEXT) | instid1(SALU_CYCLE_3)
	s_mul_f32 s15, s3, 0x2f800000
	s_trunc_f32 s15, s15
	s_delay_alu instid0(SALU_CYCLE_3) | instskip(SKIP_2) | instid1(SALU_CYCLE_1)
	s_fmamk_f32 s3, s15, 0xcf800000, s3
	s_cvt_u32_f32 s41, s15
	s_wait_alu 0xfffe
	s_cvt_u32_f32 s40, s3
	s_wait_alu 0xfffe
	s_delay_alu instid0(SALU_CYCLE_2)
	s_mul_u64 s[44:45], s[42:43], s[40:41]
	s_wait_alu 0xfffe
	s_mul_hi_u32 s49, s40, s45
	s_mul_i32 s48, s40, s45
	s_mul_hi_u32 s38, s40, s44
	s_mul_i32 s15, s41, s44
	s_add_nc_u64 s[48:49], s[38:39], s[48:49]
	s_mul_hi_u32 s3, s41, s44
	s_mul_hi_u32 s19, s41, s45
	s_add_co_u32 s15, s48, s15
	s_wait_alu 0xfffe
	s_add_co_ci_u32 s46, s49, s3
	s_mul_i32 s44, s41, s45
	s_add_co_ci_u32 s45, s19, 0
	s_wait_alu 0xfffe
	s_add_nc_u64 s[44:45], s[46:47], s[44:45]
	s_wait_alu 0xfffe
	v_add_co_u32 v1, s3, s40, s44
	s_delay_alu instid0(VALU_DEP_1) | instskip(SKIP_1) | instid1(VALU_DEP_1)
	s_cmp_lg_u32 s3, 0
	s_add_co_ci_u32 s41, s41, s45
	v_readfirstlane_b32 s40, v1
	s_mov_b32 s45, s31
	s_wait_alu 0xfffe
	s_delay_alu instid0(VALU_DEP_1)
	s_mul_u64 s[42:43], s[42:43], s[40:41]
	s_wait_alu 0xfffe
	s_mul_hi_u32 s47, s40, s43
	s_mul_i32 s46, s40, s43
	s_mul_hi_u32 s38, s40, s42
	s_mul_i32 s15, s41, s42
	s_add_nc_u64 s[46:47], s[38:39], s[46:47]
	s_mul_hi_u32 s3, s41, s42
	s_mul_hi_u32 s19, s41, s43
	s_add_co_u32 s15, s46, s15
	s_wait_alu 0xfffe
	s_add_co_ci_u32 s44, s47, s3
	s_mul_i32 s42, s41, s43
	s_add_co_ci_u32 s43, s19, 0
	s_wait_alu 0xfffe
	s_add_nc_u64 s[42:43], s[44:45], s[42:43]
	s_mov_b32 s44, s31
	s_wait_alu 0xfffe
	v_add_co_u32 v1, s3, v1, s42
	s_delay_alu instid0(VALU_DEP_1) | instskip(SKIP_1) | instid1(VALU_DEP_1)
	s_cmp_lg_u32 s3, 0
	s_add_co_ci_u32 s15, s41, s43
	v_readfirstlane_b32 s3, v1
	s_mul_hi_u32 s43, s30, s15
	s_mul_i32 s42, s30, s15
	s_mov_b32 s41, s31
	s_delay_alu instid0(VALU_DEP_1)
	s_mul_hi_u32 s38, s30, s3
	s_wait_alu 0xfffe
	s_add_nc_u64 s[42:43], s[38:39], s[42:43]
	s_wait_alu 0xfffe
	s_mov_b32 s40, s43
	s_wait_alu 0xfffe
	s_or_b64 s[40:41], s[40:41], s[44:45]
	s_mov_b32 s40, s43
	s_wait_alu 0xfffe
	s_mul_u64 s[44:45], s[22:23], s[40:41]
	s_add_nc_u64 s[46:47], s[40:41], 1
	s_wait_alu 0xfffe
	v_sub_co_u32 v1, s3, s30, s44
	s_sub_co_i32 s15, 0, s45
	s_cmp_lg_u32 s3, 0
	s_add_nc_u64 s[48:49], s[40:41], 2
	s_delay_alu instid0(VALU_DEP_1) | instskip(SKIP_2) | instid1(VALU_DEP_1)
	v_sub_co_u32 v2, s19, v1, s22
	s_sub_co_ci_u32 s15, s15, s23
	s_cmp_lg_u32 s19, 0
	v_readfirstlane_b32 s19, v2
	s_sub_co_ci_u32 s15, s15, 0
	s_delay_alu instid0(SALU_CYCLE_1) | instskip(SKIP_1) | instid1(VALU_DEP_1)
	s_cmp_ge_u32 s15, s23
	s_cselect_b32 s27, -1, 0
	s_cmp_ge_u32 s19, s22
	s_cselect_b32 s19, -1, 0
	s_cmp_eq_u32 s15, s23
	s_cselect_b32 s15, s19, s27
	s_delay_alu instid0(SALU_CYCLE_1)
	s_cmp_lg_u32 s15, 0
	s_cselect_b32 s15, s48, s46
	s_cselect_b32 s19, s49, s47
	s_cmp_lg_u32 s3, 0
	v_readfirstlane_b32 s3, v1
	s_sub_co_ci_u32 s27, 0, s45
	s_delay_alu instid0(SALU_CYCLE_1) | instskip(SKIP_1) | instid1(VALU_DEP_1)
	s_cmp_ge_u32 s27, s23
	s_cselect_b32 s38, -1, 0
	s_cmp_ge_u32 s3, s22
	s_cselect_b32 s3, -1, 0
	s_cmp_eq_u32 s27, s23
	s_wait_alu 0xfffe
	s_cselect_b32 s3, s3, s38
	s_wait_alu 0xfffe
	s_cmp_lg_u32 s3, 0
	s_cselect_b32 s41, s19, s41
	s_cselect_b32 s40, s15, s43
	s_cbranch_execnz .LBB0_5
.LBB0_4:                                ;   in Loop: Header=BB0_2 Depth=1
	v_cvt_f32_u32_e32 v1, s22
	s_sub_co_i32 s15, 0, s22
	s_mov_b32 s41, s31
	s_delay_alu instid0(VALU_DEP_1) | instskip(NEXT) | instid1(TRANS32_DEP_1)
	v_rcp_iflag_f32_e32 v1, v1
	v_mul_f32_e32 v1, 0x4f7ffffe, v1
	s_delay_alu instid0(VALU_DEP_1) | instskip(NEXT) | instid1(VALU_DEP_1)
	v_cvt_u32_f32_e32 v1, v1
	v_readfirstlane_b32 s3, v1
	s_delay_alu instid0(VALU_DEP_1) | instskip(NEXT) | instid1(SALU_CYCLE_1)
	s_mul_i32 s15, s15, s3
	s_mul_hi_u32 s15, s3, s15
	s_delay_alu instid0(SALU_CYCLE_1)
	s_add_co_i32 s3, s3, s15
	s_wait_alu 0xfffe
	s_mul_hi_u32 s3, s30, s3
	s_wait_alu 0xfffe
	s_mul_i32 s15, s3, s22
	s_add_co_i32 s19, s3, 1
	s_sub_co_i32 s15, s30, s15
	s_delay_alu instid0(SALU_CYCLE_1)
	s_sub_co_i32 s27, s15, s22
	s_cmp_ge_u32 s15, s22
	s_cselect_b32 s3, s19, s3
	s_cselect_b32 s15, s27, s15
	s_wait_alu 0xfffe
	s_add_co_i32 s19, s3, 1
	s_cmp_ge_u32 s15, s22
	s_cselect_b32 s40, s19, s3
.LBB0_5:                                ;   in Loop: Header=BB0_2 Depth=1
	s_add_nc_u64 s[38:39], s[10:11], s[36:37]
	s_add_nc_u64 s[36:37], s[24:25], s[36:37]
	s_load_b64 s[38:39], s[38:39], 0x0
	s_load_b64 s[42:43], s[36:37], 0x0
	s_mov_b32 s3, s31
	s_mul_u64 s[36:37], s[40:41], s[22:23]
	s_wait_alu 0xfffe
	v_cmp_ge_u64_e64 s15, s[2:3], s[6:7]
	s_mul_i32 s33, s33, s22
	s_sub_nc_u64 s[22:23], s[30:31], s[36:37]
	s_mov_b64 s[36:37], s[2:3]
	s_add_co_i32 s2, s2, 1
	s_delay_alu instid0(VALU_DEP_1)
	s_and_b32 vcc_lo, exec_lo, s15
	s_wait_kmcnt 0x0
	s_wait_alu 0xfffe
	s_mul_u64 s[38:39], s[38:39], s[22:23]
	s_mul_u64 s[22:23], s[42:43], s[22:23]
	s_add_nc_u64 s[28:29], s[38:39], s[28:29]
	s_wait_alu 0xfffe
	s_add_nc_u64 s[20:21], s[22:23], s[20:21]
	s_cbranch_vccnz .LBB0_9
; %bb.6:                                ;   in Loop: Header=BB0_2 Depth=1
	s_mov_b32 s30, s40
	s_branch .LBB0_2
.LBB0_7:                                ;   in Loop: Header=BB0_2 Depth=1
                                        ; implicit-def: $sgpr40_sgpr41
	s_branch .LBB0_4
.LBB0_8:
	s_mov_b64 s[28:29], s[30:31]
	s_branch .LBB0_10
.LBB0_9:
	s_cvt_f32_u32 s2, s33
	s_sub_co_i32 s3, 0, s33
	s_wait_alu 0xfffe
	s_delay_alu instid0(SALU_CYCLE_1) | instskip(NEXT) | instid1(TRANS32_DEP_1)
	v_rcp_iflag_f32_e32 v1, s2
	v_readfirstlane_b32 s2, v1
	s_delay_alu instid0(VALU_DEP_1) | instskip(SKIP_1) | instid1(SALU_CYCLE_2)
	s_mul_f32 s2, s2, 0x4f7ffffe
	s_wait_alu 0xfffe
	s_cvt_u32_f32 s2, s2
	s_wait_alu 0xfffe
	s_delay_alu instid0(SALU_CYCLE_2)
	s_mul_i32 s3, s3, s2
	s_wait_alu 0xfffe
	s_mul_hi_u32 s8, s2, s3
	s_mov_b32 s3, 0
	s_add_co_i32 s2, s2, s8
	s_wait_alu 0xfffe
	s_mul_u64 s[2:3], s[34:35], s[2:3]
	s_wait_alu 0xfffe
	s_mul_i32 s2, s3, s33
	s_add_co_i32 s8, s3, 1
	s_wait_alu 0xfffe
	s_sub_co_i32 s2, ttmp9, s2
	s_wait_alu 0xfffe
	s_sub_co_i32 s9, s2, s33
	s_cmp_ge_u32 s2, s33
	s_cselect_b32 s3, s8, s3
	s_cselect_b32 s2, s9, s2
	s_wait_alu 0xfffe
	s_add_co_i32 s8, s3, 1
	s_cmp_ge_u32 s2, s33
	s_cselect_b32 s22, s8, s3
.LBB0_10:
	v_mul_u32_u24_e32 v1, 0x51f, v0
	s_lshl_b64 s[6:7], s[6:7], 3
	s_load_b128 s[0:3], s[0:1], 0x58
	s_add_nc_u64 s[8:9], s[10:11], s[6:7]
	s_mov_b32 s23, 0
	v_lshrrev_b32_e32 v44, 16, v1
	s_load_b64 s[8:9], s[8:9], 0x0
	s_lshl_b64 s[10:11], s[28:29], 4
	s_mov_b32 s19, 0xbfee6f0e
	s_delay_alu instid0(VALU_DEP_1) | instskip(SKIP_3) | instid1(VALU_DEP_3)
	v_mul_lo_u32 v1, s18, v44
	v_mul_lo_u16 v3, v44, 50
	v_mov_b32_e32 v2, 0
	v_mul_u32_u24_e32 v44, 0x320, v44
	v_sub_nc_u16 v5, v0, v3
	s_delay_alu instid0(VALU_DEP_3) | instskip(SKIP_1) | instid1(VALU_DEP_3)
	v_lshlrev_b64_e32 v[3:4], 4, v[1:2]
	v_add_nc_u32_e32 v1, s18, v1
	v_and_b32_e32 v45, 0xffff, v5
	s_delay_alu instid0(VALU_DEP_2) | instskip(SKIP_1) | instid1(VALU_DEP_3)
	v_lshlrev_b64_e32 v[5:6], 4, v[1:2]
	v_add_nc_u32_e32 v1, s18, v1
	v_mad_co_u64_u32 v[7:8], null, s16, v45, 0
	s_wait_kmcnt 0x0
	s_mul_u64 s[8:9], s[8:9], s[22:23]
	s_delay_alu instid0(VALU_DEP_2)
	v_lshlrev_b64_e32 v[9:10], 4, v[1:2]
	s_lshl_b64 s[8:9], s[8:9], 4
	v_add_nc_u32_e32 v1, s18, v1
	s_add_nc_u64 s[0:1], s[0:1], s[8:9]
	s_mov_b32 s8, 0x4755a5e
	s_add_nc_u64 s[0:1], s[0:1], s[10:11]
	v_mad_co_u64_u32 v[13:14], null, s17, v45, v[8:9]
	v_lshlrev_b64_e32 v[11:12], 4, v[1:2]
	v_add_nc_u32_e32 v1, s18, v1
	s_mov_b32 s10, 0x134454ff
	s_mov_b32 s11, 0x3fee6f0e
	;; [unrolled: 1-line block ×4, first 2 shown]
	s_delay_alu instid0(VALU_DEP_3)
	v_mov_b32_e32 v8, v13
	v_lshlrev_b64_e32 v[14:15], 4, v[1:2]
	v_add_nc_u32_e32 v1, s18, v1
	v_lshlrev_b32_e32 v45, 4, v45
	s_mov_b32 s16, s8
	v_lshlrev_b64_e32 v[7:8], 4, v[7:8]
	s_delay_alu instid0(VALU_DEP_3) | instskip(SKIP_2) | instid1(VALU_DEP_4)
	v_lshlrev_b64_e32 v[20:21], 4, v[1:2]
	v_add_nc_u32_e32 v1, s18, v1
	v_add3_u32 v44, 0, v44, v45
	v_add_co_u32 v30, vcc_lo, s0, v7
	v_add_co_ci_u32_e32 v31, vcc_lo, s1, v8, vcc_lo
	s_delay_alu instid0(VALU_DEP_4) | instskip(NEXT) | instid1(VALU_DEP_3)
	v_lshlrev_b64_e32 v[22:23], 4, v[1:2]
	v_add_co_u32 v3, vcc_lo, v30, v3
	s_wait_alu 0xfffd
	s_delay_alu instid0(VALU_DEP_3)
	v_add_co_ci_u32_e32 v4, vcc_lo, v31, v4, vcc_lo
	v_add_co_u32 v16, vcc_lo, v30, v5
	s_wait_alu 0xfffd
	v_add_co_ci_u32_e32 v17, vcc_lo, v31, v6, vcc_lo
	v_add_co_u32 v18, vcc_lo, v30, v9
	s_wait_alu 0xfffd
	;; [unrolled: 3-line block ×3, first 2 shown]
	v_add_co_ci_u32_e32 v25, vcc_lo, v31, v12, vcc_lo
	v_add_nc_u32_e32 v1, s18, v1
	v_add_co_u32 v26, vcc_lo, v30, v14
	s_wait_alu 0xfffd
	v_add_co_ci_u32_e32 v27, vcc_lo, v31, v15, vcc_lo
	s_clause 0x3
	global_load_b128 v[4:7], v[3:4], off
	global_load_b128 v[8:11], v[16:17], off
	;; [unrolled: 1-line block ×4, first 2 shown]
	v_add_co_u32 v24, vcc_lo, v30, v20
	s_wait_alu 0xfffd
	v_add_co_ci_u32_e32 v25, vcc_lo, v31, v21, vcc_lo
	v_lshlrev_b64_e32 v[20:21], 4, v[1:2]
	v_add_nc_u32_e32 v1, s18, v1
	v_add_co_u32 v28, vcc_lo, v30, v22
	s_wait_alu 0xfffd
	v_add_co_ci_u32_e32 v29, vcc_lo, v31, v23, vcc_lo
	s_delay_alu instid0(VALU_DEP_3) | instskip(SKIP_4) | instid1(VALU_DEP_3)
	v_lshlrev_b64_e32 v[22:23], 4, v[1:2]
	v_add_nc_u32_e32 v1, s18, v1
	v_add_co_u32 v32, vcc_lo, v30, v20
	s_wait_alu 0xfffd
	v_add_co_ci_u32_e32 v33, vcc_lo, v31, v21, vcc_lo
	v_lshlrev_b64_e32 v[20:21], 4, v[1:2]
	v_add_co_u32 v36, vcc_lo, v30, v22
	s_wait_alu 0xfffd
	v_add_co_ci_u32_e32 v37, vcc_lo, v31, v23, vcc_lo
	v_mul_u32_u24_e32 v1, 0x3334, v0
	s_delay_alu instid0(VALU_DEP_4)
	v_add_co_u32 v40, vcc_lo, v30, v20
	s_wait_alu 0xfffd
	v_add_co_ci_u32_e32 v41, vcc_lo, v31, v21, vcc_lo
	s_clause 0x5
	global_load_b128 v[20:23], v[26:27], off
	global_load_b128 v[24:27], v[24:25], off
	;; [unrolled: 1-line block ×6, first 2 shown]
	v_lshrrev_b32_e32 v1, 16, v1
	s_add_nc_u64 s[0:1], s[24:25], s[6:7]
	v_add_nc_u32_e32 v45, 0x800, v44
	s_load_b64 s[0:1], s[0:1], 0x0
	v_add_nc_u32_e32 v47, 0x1800, v44
	v_add_nc_u32_e32 v3, s26, v1
	v_mul_lo_u16 v1, v1, 5
	s_mov_b32 s18, s10
	s_mov_b32 s6, 0x372fe950
	;; [unrolled: 1-line block ×3, first 2 shown]
	v_mul_hi_u32 v46, 0xcccccccd, v3
	v_sub_nc_u16 v1, v0, v1
	s_mov_b32 s24, 0x9b97f4a8
	s_mov_b32 s25, 0x3fe9e377
	s_delay_alu instid0(VALU_DEP_1) | instskip(NEXT) | instid1(VALU_DEP_3)
	v_and_b32_e32 v1, 0xffff, v1
	v_lshrrev_b32_e32 v46, 3, v46
	s_delay_alu instid0(VALU_DEP_2) | instskip(NEXT) | instid1(VALU_DEP_2)
	v_lshlrev_b32_e32 v61, 4, v1
	v_mul_lo_u32 v46, v46, 10
	s_wait_kmcnt 0x0
	s_mul_u64 s[0:1], s[0:1], s[22:23]
	s_wait_alu 0xfffe
	s_lshl_b64 s[0:1], s[0:1], 4
	s_wait_alu 0xfffe
	s_add_nc_u64 s[0:1], s[2:3], s[0:1]
	s_delay_alu instid0(VALU_DEP_1)
	v_sub_nc_u32_e32 v3, v3, v46
	v_add_nc_u32_e32 v46, 0x1000, v44
	s_wait_loadcnt 0x9
	ds_store_b128 v44, v[4:7]
	s_wait_loadcnt 0x8
	ds_store_b128 v44, v[8:11] offset:800
	s_wait_loadcnt 0x7
	ds_store_b128 v44, v[12:15] offset:1600
	;; [unrolled: 2-line block ×3, first 2 shown]
	s_wait_loadcnt 0x5
	ds_store_2addr_b64 v45, v[20:21], v[22:23] offset0:144 offset1:145
	s_wait_loadcnt 0x4
	ds_store_2addr_b64 v45, v[24:25], v[26:27] offset0:244 offset1:245
	s_wait_loadcnt 0x3
	ds_store_2addr_b64 v46, v[28:29], v[30:31] offset0:88 offset1:89
	s_wait_loadcnt 0x2
	ds_store_2addr_b64 v46, v[32:33], v[34:35] offset0:188 offset1:189
	s_wait_loadcnt 0x1
	ds_store_2addr_b64 v47, v[36:37], v[38:39] offset0:32 offset1:33
	s_wait_loadcnt 0x0
	ds_store_2addr_b64 v47, v[40:41], v[42:43] offset0:132 offset1:133
	v_mul_u32_u24_e32 v3, 50, v3
	global_wb scope:SCOPE_SE
	s_wait_dscnt 0x0
	s_barrier_signal -1
	s_barrier_wait -1
	global_inv scope:SCOPE_SE
	v_lshlrev_b32_e32 v62, 4, v3
	s_delay_alu instid0(VALU_DEP_1)
	v_add3_u32 v3, 0, v61, v62
	ds_load_b128 v[5:8], v3 offset:400
	ds_load_b128 v[9:12], v3 offset:560
	;; [unrolled: 1-line block ×6, first 2 shown]
	v_add3_u32 v4, 0, v62, v61
	s_wait_dscnt 0x4
	v_add_f64_e32 v[29:30], v[5:6], v[9:10]
	v_add_f64_e32 v[45:46], v[7:8], v[11:12]
	s_wait_dscnt 0x2
	v_add_f64_e32 v[41:42], v[15:16], v[19:20]
	v_add_f64_e32 v[43:44], v[13:14], v[17:18]
	v_add_f64_e64 v[47:48], v[15:16], -v[19:20]
	v_add_f64_e64 v[53:54], v[5:6], -v[9:10]
	;; [unrolled: 1-line block ×8, first 2 shown]
	s_wait_dscnt 0x1
	v_add_f64_e32 v[13:14], v[21:22], v[13:14]
	v_add_f64_e64 v[79:80], v[11:12], -v[19:20]
	v_add_f64_e64 v[85:86], v[19:20], -v[11:12]
	v_fma_f64 v[49:50], v[29:30], -0.5, v[21:22]
	v_fma_f64 v[45:46], v[45:46], -0.5, v[23:24]
	;; [unrolled: 1-line block ×4, first 2 shown]
	ds_load_b128 v[29:32], v3 offset:320
	ds_load_b128 v[33:36], v3 offset:480
	ds_load_b128 v[37:40], v3 offset:640
	v_add_f64_e32 v[21:22], v[23:24], v[15:16]
	v_add_f64_e64 v[23:24], v[7:8], -v[15:16]
	v_add_f64_e64 v[15:16], v[15:16], -v[7:8]
	ds_load_b128 v[41:44], v4
	v_add_f64_e32 v[69:70], v[69:70], v[71:72]
	global_wb scope:SCOPE_SE
	s_wait_dscnt 0x0
	v_add_f64_e32 v[73:74], v[73:74], v[75:76]
	v_add_f64_e32 v[5:6], v[13:14], v[5:6]
	s_barrier_signal -1
	s_barrier_wait -1
	global_inv scope:SCOPE_SE
	v_add_f64_e32 v[61:62], v[29:30], v[33:34]
	v_add_f64_e32 v[63:64], v[25:26], v[37:38]
	;; [unrolled: 1-line block ×4, first 2 shown]
	v_add_f64_e64 v[71:72], v[31:32], -v[35:36]
	v_add_f64_e32 v[89:90], v[41:42], v[25:26]
	v_add_f64_e64 v[75:76], v[25:26], -v[37:38]
	v_fma_f64 v[77:78], v[47:48], s[10:11], v[49:50]
	v_fma_f64 v[49:50], v[47:48], s[18:19], v[49:50]
	;; [unrolled: 1-line block ×8, first 2 shown]
	v_add_f64_e32 v[23:24], v[23:24], v[79:80]
	v_add_f64_e32 v[15:16], v[15:16], v[85:86]
	v_add_f64_e64 v[85:86], v[27:28], -v[31:32]
	v_add_f64_e32 v[7:8], v[21:22], v[7:8]
	v_add_f64_e32 v[5:6], v[5:6], v[9:10]
	v_fma_f64 v[61:62], v[61:62], -0.5, v[41:42]
	v_fma_f64 v[41:42], v[63:64], -0.5, v[41:42]
	;; [unrolled: 1-line block ×4, first 2 shown]
	v_add_f64_e32 v[43:44], v[43:44], v[27:28]
	v_add_f64_e64 v[67:68], v[27:28], -v[39:40]
	v_add_f64_e64 v[27:28], v[31:32], -v[27:28]
	v_fma_f64 v[77:78], v[51:52], s[8:9], v[77:78]
	v_fma_f64 v[49:50], v[51:52], s[16:17], v[49:50]
	v_add_f64_e64 v[51:52], v[29:30], -v[33:34]
	v_fma_f64 v[79:80], v[59:60], s[16:17], v[81:82]
	v_fma_f64 v[81:82], v[47:48], s[16:17], v[83:84]
	;; [unrolled: 1-line block ×5, first 2 shown]
	v_add_f64_e64 v[59:60], v[25:26], -v[29:30]
	v_add_f64_e64 v[25:26], v[29:30], -v[25:26]
	v_add_f64_e32 v[29:30], v[89:90], v[29:30]
	v_add_f64_e64 v[83:84], v[37:38], -v[33:34]
	v_add_f64_e64 v[89:90], v[35:36], -v[39:40]
	v_fma_f64 v[45:46], v[53:54], s[16:17], v[45:46]
	v_add_f64_e64 v[87:88], v[33:34], -v[37:38]
	v_add_f64_e32 v[7:8], v[7:8], v[11:12]
	v_add_f64_e32 v[17:18], v[5:6], v[17:18]
	v_fma_f64 v[53:54], v[75:76], s[18:19], v[63:64]
	v_fma_f64 v[63:64], v[75:76], s[10:11], v[63:64]
	v_add_f64_e32 v[31:32], v[43:44], v[31:32]
	v_add_f64_e64 v[43:44], v[39:40], -v[35:36]
	v_fma_f64 v[13:14], v[67:68], s[10:11], v[61:62]
	v_fma_f64 v[21:22], v[67:68], s[18:19], v[61:62]
	;; [unrolled: 1-line block ×13, first 2 shown]
	v_add_f64_e32 v[29:30], v[29:30], v[33:34]
	v_add_f64_e32 v[57:58], v[59:60], v[83:84]
	;; [unrolled: 1-line block ×3, first 2 shown]
	v_fma_f64 v[15:16], v[15:16], s[6:7], v[45:46]
	v_add_f64_e32 v[25:26], v[25:26], v[87:88]
	v_add_f64_e32 v[19:20], v[7:8], v[19:20]
	v_fma_f64 v[33:34], v[51:52], s[16:17], v[53:54]
	v_add_f64_e32 v[31:32], v[31:32], v[35:36]
	v_add_f64_e32 v[43:44], v[85:86], v[43:44]
	v_fma_f64 v[9:10], v[71:72], s[8:9], v[13:14]
	v_fma_f64 v[11:12], v[71:72], s[16:17], v[21:22]
	;; [unrolled: 1-line block ×5, first 2 shown]
	v_mul_f64_e32 v[45:46], s[24:25], v[77:78]
	v_mul_f64_e32 v[63:64], s[16:17], v[77:78]
	v_fma_f64 v[41:42], v[75:76], s[16:17], v[69:70]
	v_mul_f64_e32 v[53:54], s[10:11], v[79:80]
	v_fma_f64 v[51:52], v[75:76], s[8:9], v[65:66]
	v_mul_f64_e32 v[61:62], s[24:25], v[49:50]
	v_mul_f64_e32 v[65:66], s[18:19], v[47:48]
	v_mul_f64_e32 v[59:60], s[6:7], v[81:82]
	v_mul_f64_e32 v[67:68], s[6:7], v[23:24]
	v_mul_f64_e32 v[69:70], s[24:25], v[55:56]
	v_add_f64_e32 v[29:30], v[29:30], v[37:38]
	v_add_f64_e32 v[31:32], v[31:32], v[39:40]
	v_fma_f64 v[73:74], v[43:44], s[6:7], v[33:34]
	v_fma_f64 v[37:38], v[57:58], s[6:7], v[9:10]
	;; [unrolled: 1-line block ×10, first 2 shown]
	v_fma_f64 v[47:48], v[55:56], s[8:9], -v[61:62]
	v_fma_f64 v[55:56], v[79:80], s[6:7], v[65:66]
	v_fma_f64 v[51:52], v[27:28], s[6:7], v[51:52]
	v_fma_f64 v[45:46], v[23:24], s[10:11], -v[59:60]
	v_fma_f64 v[59:60], v[81:82], s[18:19], -v[67:68]
	;; [unrolled: 1-line block ×3, first 2 shown]
	v_add_f64_e32 v[5:6], v[29:30], v[17:18]
	v_add_f64_e64 v[9:10], v[29:30], -v[17:18]
	v_mad_u32_u24 v79, 0x90, v1, v3
	s_delay_alu instid0(VALU_DEP_1)
	v_mad_i32_i24 v93, 0xffffff70, v1, v79
	v_add_f64_e32 v[7:8], v[31:32], v[19:20]
	v_add_f64_e64 v[11:12], v[31:32], -v[19:20]
	v_add_f64_e32 v[13:14], v[37:38], v[33:34]
	v_add_f64_e64 v[29:30], v[37:38], -v[33:34]
	v_add_f64_e32 v[17:18], v[57:58], v[41:42]
	v_add_f64_e32 v[15:16], v[73:74], v[53:54]
	;; [unrolled: 1-line block ×4, first 2 shown]
	v_add_f64_e64 v[31:32], v[73:74], -v[53:54]
	v_add_f64_e32 v[21:22], v[71:72], v[45:46]
	v_add_f64_e32 v[23:24], v[51:52], v[59:60]
	;; [unrolled: 1-line block ×3, first 2 shown]
	v_add_f64_e64 v[33:34], v[57:58], -v[41:42]
	v_add_f64_e64 v[35:36], v[35:36], -v[55:56]
	;; [unrolled: 1-line block ×6, first 2 shown]
	v_lshlrev_b32_e32 v45, 6, v1
	ds_store_b128 v79, v[5:8]
	ds_store_b128 v79, v[13:16] offset:16
	ds_store_b128 v79, v[17:20] offset:32
	;; [unrolled: 1-line block ×9, first 2 shown]
	global_wb scope:SCOPE_SE
	s_wait_dscnt 0x0
	s_barrier_signal -1
	s_barrier_wait -1
	global_inv scope:SCOPE_SE
	s_clause 0x1
	global_load_b128 v[5:8], v45, s[4:5]
	global_load_b128 v[9:12], v45, s[4:5] offset:16
	v_add_nc_u32_e32 v33, 0x140, v45
	s_clause 0x5
	global_load_b128 v[13:16], v45, s[4:5] offset:32
	global_load_b128 v[17:20], v45, s[4:5] offset:48
	global_load_b128 v[21:24], v33, s[4:5]
	global_load_b128 v[25:28], v33, s[4:5] offset:16
	global_load_b128 v[29:32], v33, s[4:5] offset:32
	;; [unrolled: 1-line block ×3, first 2 shown]
	ds_load_b128 v[37:40], v3 offset:160
	ds_load_b128 v[41:44], v3 offset:320
	;; [unrolled: 1-line block ×8, first 2 shown]
	s_lshl_b64 s[4:5], s[20:21], 4
	s_wait_alu 0xfffe
	s_add_nc_u64 s[0:1], s[0:1], s[4:5]
	s_wait_loadcnt_dscnt 0x504
	v_mul_f64_e32 v[73:74], v[51:52], v[15:16]
	v_mul_f64_e32 v[69:70], v[39:40], v[7:8]
	;; [unrolled: 1-line block ×6, first 2 shown]
	s_wait_loadcnt_dscnt 0x403
	v_mul_f64_e32 v[75:76], v[55:56], v[19:20]
	v_mul_f64_e32 v[19:20], v[53:54], v[19:20]
	s_wait_loadcnt 0x3
	v_mul_f64_e32 v[77:78], v[47:48], v[23:24]
	v_mul_f64_e32 v[23:24], v[45:46], v[23:24]
	v_fma_f64 v[37:38], v[37:38], v[5:6], -v[69:70]
	v_fma_f64 v[39:40], v[39:40], v[5:6], v[7:8]
	s_wait_loadcnt_dscnt 0x202
	v_mul_f64_e32 v[5:6], v[59:60], v[27:28]
	v_mul_f64_e32 v[7:8], v[57:58], v[27:28]
	s_wait_loadcnt_dscnt 0x101
	v_mul_f64_e32 v[27:28], v[63:64], v[31:32]
	s_wait_loadcnt_dscnt 0x0
	v_mul_f64_e32 v[69:70], v[67:68], v[35:36]
	v_fma_f64 v[41:42], v[41:42], v[9:10], -v[71:72]
	v_fma_f64 v[43:44], v[43:44], v[9:10], v[11:12]
	v_mul_f64_e32 v[9:10], v[61:62], v[31:32]
	v_mul_f64_e32 v[11:12], v[65:66], v[35:36]
	v_mul_u32_u24_e32 v31, 0x199a, v0
	s_delay_alu instid0(VALU_DEP_1)
	v_lshrrev_b32_e32 v80, 16, v31
	v_fma_f64 v[31:32], v[49:50], v[13:14], -v[73:74]
	v_fma_f64 v[13:14], v[51:52], v[13:14], v[15:16]
	v_fma_f64 v[15:16], v[53:54], v[17:18], -v[75:76]
	v_fma_f64 v[17:18], v[55:56], v[17:18], v[19:20]
	;; [unrolled: 2-line block ×3, first 2 shown]
	v_fma_f64 v[23:24], v[57:58], v[25:26], -v[5:6]
	v_mul_lo_u16 v5, v80, 10
	v_fma_f64 v[25:26], v[59:60], v[25:26], v[7:8]
	v_fma_f64 v[27:28], v[61:62], v[29:30], -v[27:28]
	v_fma_f64 v[35:36], v[65:66], v[33:34], -v[69:70]
	v_fma_f64 v[29:30], v[63:64], v[29:30], v[9:10]
	v_fma_f64 v[33:34], v[67:68], v[33:34], v[11:12]
	v_sub_nc_u16 v0, v0, v5
	ds_load_b128 v[4:7], v4
	v_add_f64_e64 v[63:64], v[37:38], -v[41:42]
	v_add_f64_e64 v[67:68], v[41:42], -v[37:38]
	v_lshlrev_b32_e32 v12, 4, v80
	v_and_b32_e32 v8, 0xffff, v0
	v_mul_lo_u16 v0, v0, 50
	v_add_f64_e32 v[47:48], v[41:42], v[31:32]
	v_add_f64_e32 v[49:50], v[37:38], v[15:16]
	;; [unrolled: 1-line block ×3, first 2 shown]
	v_mad_co_u64_u32 v[45:46], null, s12, v8, 0
	v_and_b32_e32 v71, 0xffff, v0
	v_add_f64_e32 v[53:54], v[39:40], v[17:18]
	v_add_f64_e64 v[65:66], v[15:16], -v[31:32]
	v_add_f64_e64 v[69:70], v[31:32], -v[15:16]
	;; [unrolled: 1-line block ×3, first 2 shown]
	v_dual_mov_b32 v0, v46 :: v_dual_lshlrev_b32 v75, 4, v71
	s_delay_alu instid0(VALU_DEP_1) | instskip(NEXT) | instid1(VALU_DEP_2)
	v_add3_u32 v94, 0, v75, v12
	v_mad_co_u64_u32 v[0:1], null, s13, v8, v[0:1]
	ds_load_b128 v[8:11], v93 offset:80
	s_wait_dscnt 0x1
	v_add_f64_e32 v[73:74], v[6:7], v[39:40]
	v_add_f64_e32 v[71:72], v[4:5], v[37:38]
	v_add3_u32 v95, 0, v12, v75
	v_add_f64_e64 v[75:76], v[17:18], -v[13:14]
	v_add_f64_e64 v[37:38], v[37:38], -v[15:16]
	v_mov_b32_e32 v46, v0
	v_add_f64_e64 v[83:84], v[19:20], -v[23:24]
	v_add_f64_e32 v[55:56], v[23:24], v[27:28]
	v_add_f64_e32 v[57:58], v[19:20], v[35:36]
	v_add_f64_e64 v[85:86], v[35:36], -v[27:28]
	v_add_f64_e32 v[59:60], v[25:26], v[29:30]
	v_add_f64_e32 v[61:62], v[21:22], v[33:34]
	v_lshlrev_b64_e32 v[0:1], 4, v[45:46]
	v_add_f64_e64 v[45:46], v[39:40], -v[43:44]
	v_add_f64_e64 v[87:88], v[23:24], -v[19:20]
	global_wb scope:SCOPE_SE
	s_wait_dscnt 0x0
	s_barrier_signal -1
	s_barrier_wait -1
	s_wait_alu 0xfffe
	v_add_co_u32 v96, vcc_lo, s0, v0
	v_add_f64_e32 v[77:78], v[8:9], v[19:20]
	s_wait_alu 0xfffd
	v_add_co_ci_u32_e32 v97, vcc_lo, s1, v1, vcc_lo
	v_mul_lo_u32 v1, s14, v80
	v_add_f64_e64 v[79:80], v[43:44], -v[39:40]
	v_fma_f64 v[47:48], v[47:48], -0.5, v[4:5]
	v_fma_f64 v[4:5], v[49:50], -0.5, v[4:5]
	;; [unrolled: 1-line block ×4, first 2 shown]
	v_add_f64_e32 v[53:54], v[10:11], v[21:22]
	v_add_f64_e32 v[63:64], v[63:64], v[65:66]
	v_add_f64_e64 v[65:66], v[25:26], -v[21:22]
	v_add_f64_e32 v[67:68], v[67:68], v[69:70]
	v_add_f64_e64 v[69:70], v[29:30], -v[33:34]
	v_add_f64_e64 v[39:40], v[39:40], -v[17:18]
	;; [unrolled: 1-line block ×4, first 2 shown]
	s_mul_i32 s0, s14, 5
	v_add_f64_e32 v[73:74], v[73:74], v[43:44]
	v_add_f64_e64 v[43:44], v[43:44], -v[13:14]
	v_add_f64_e32 v[71:72], v[71:72], v[41:42]
	v_add_f64_e64 v[41:42], v[41:42], -v[31:32]
	global_inv scope:SCOPE_SE
	v_fma_f64 v[55:56], v[55:56], -0.5, v[8:9]
	v_fma_f64 v[8:9], v[57:58], -0.5, v[8:9]
	;; [unrolled: 1-line block ×4, first 2 shown]
	v_add_f64_e64 v[59:60], v[21:22], -v[25:26]
	v_add_f64_e64 v[61:62], v[33:34], -v[29:30]
	;; [unrolled: 1-line block ×3, first 2 shown]
	v_add_f64_e32 v[45:46], v[45:46], v[75:76]
	v_add_f64_e64 v[75:76], v[25:26], -v[29:30]
	v_add_f64_e32 v[77:78], v[77:78], v[23:24]
	v_add_f64_e64 v[23:24], v[23:24], -v[27:28]
	v_add_f64_e32 v[79:80], v[79:80], v[81:82]
	v_add_f64_e32 v[81:82], v[83:84], v[85:86]
	;; [unrolled: 1-line block ×6, first 2 shown]
	v_fma_f64 v[71:72], v[41:42], s[10:11], v[6:7]
	v_fma_f64 v[6:7], v[41:42], s[18:19], v[6:7]
	;; [unrolled: 1-line block ×4, first 2 shown]
	v_add_f64_e32 v[53:54], v[59:60], v[61:62]
	v_add_f64_e32 v[59:60], v[65:66], v[69:70]
	v_fma_f64 v[61:62], v[39:40], s[10:11], v[47:48]
	v_fma_f64 v[47:48], v[39:40], s[18:19], v[47:48]
	;; [unrolled: 1-line block ×12, first 2 shown]
	v_add_f64_e32 v[27:28], v[77:78], v[27:28]
	v_lshlrev_b64_e32 v[77:78], 4, v[1:2]
	v_add_f64_e32 v[25:26], v[25:26], v[29:30]
	s_wait_alu 0xfffe
	v_add_nc_u32_e32 v1, s0, v1
	s_delay_alu instid0(VALU_DEP_3) | instskip(NEXT) | instid1(VALU_DEP_2)
	v_add_co_u32 v77, vcc_lo, v96, v77
	v_lshlrev_b64_e32 v[29:30], 4, v[1:2]
	v_add_nc_u32_e32 v1, s0, v1
	s_wait_alu 0xfffd
	v_add_co_ci_u32_e32 v78, vcc_lo, v97, v78, vcc_lo
	v_fma_f64 v[57:58], v[23:24], s[8:9], v[57:58]
	v_fma_f64 v[61:62], v[43:44], s[8:9], v[61:62]
	;; [unrolled: 1-line block ×16, first 2 shown]
	v_lshlrev_b64_e32 v[4:5], 4, v[1:2]
	v_add_co_u32 v87, vcc_lo, v96, v29
	s_wait_alu 0xfffd
	v_add_co_ci_u32_e32 v88, vcc_lo, v97, v30, vcc_lo
	v_add_f64_e32 v[6:7], v[12:13], v[17:18]
	s_delay_alu instid0(VALU_DEP_4)
	v_add_co_u32 v89, vcc_lo, v96, v4
	s_wait_alu 0xfffd
	v_add_co_ci_u32_e32 v90, vcc_lo, v97, v5, vcc_lo
	v_add_f64_e32 v[4:5], v[31:32], v[15:16]
	v_add_f64_e32 v[8:9], v[27:28], v[35:36]
	v_add_f64_e32 v[10:11], v[25:26], v[33:34]
	v_add_nc_u32_e32 v1, s0, v1
	s_delay_alu instid0(VALU_DEP_1)
	v_lshlrev_b64_e32 v[29:30], 4, v[1:2]
	v_add_nc_u32_e32 v1, s0, v1
	v_fma_f64 v[12:13], v[63:64], s[6:7], v[61:62]
	v_fma_f64 v[16:17], v[63:64], s[6:7], v[43:44]
	v_fma_f64 v[20:21], v[67:68], s[6:7], v[47:48]
	v_fma_f64 v[14:15], v[45:46], s[6:7], v[65:66]
	v_fma_f64 v[18:19], v[45:46], s[6:7], v[41:42]
	v_fma_f64 v[22:23], v[79:80], s[6:7], v[49:50]
	v_fma_f64 v[24:25], v[67:68], s[6:7], v[39:40]
	v_fma_f64 v[26:27], v[79:80], s[6:7], v[37:38]
	v_fma_f64 v[31:32], v[81:82], s[6:7], v[69:70]
	v_fma_f64 v[33:34], v[81:82], s[6:7], v[55:56]
	v_fma_f64 v[39:40], v[53:54], s[6:7], v[75:76]
	v_fma_f64 v[35:36], v[51:52], s[6:7], v[71:72]
	v_fma_f64 v[41:42], v[59:60], s[6:7], v[83:84]
	v_fma_f64 v[37:38], v[51:52], s[6:7], v[73:74]
	v_fma_f64 v[43:44], v[59:60], s[6:7], v[85:86]
	v_fma_f64 v[45:46], v[53:54], s[6:7], v[57:58]
	v_lshlrev_b64_e32 v[91:92], 4, v[1:2]
	v_add_nc_u32_e32 v1, s0, v1
	v_add_co_u32 v47, vcc_lo, v96, v29
	s_wait_alu 0xfffd
	v_add_co_ci_u32_e32 v48, vcc_lo, v97, v30, vcc_lo
	s_delay_alu instid0(VALU_DEP_3) | instskip(SKIP_4) | instid1(VALU_DEP_3)
	v_lshlrev_b64_e32 v[28:29], 4, v[1:2]
	v_add_nc_u32_e32 v1, s0, v1
	v_add_co_u32 v49, vcc_lo, v96, v91
	s_wait_alu 0xfffd
	v_add_co_ci_u32_e32 v50, vcc_lo, v97, v92, vcc_lo
	v_lshlrev_b64_e32 v[51:52], 4, v[1:2]
	v_add_nc_u32_e32 v1, s0, v1
	v_add_co_u32 v53, vcc_lo, v96, v28
	s_wait_alu 0xfffd
	v_add_co_ci_u32_e32 v54, vcc_lo, v97, v29, vcc_lo
	ds_store_b128 v93, v[4:7]
	ds_store_b128 v3, v[12:15] offset:160
	ds_store_b128 v3, v[20:23] offset:320
	;; [unrolled: 1-line block ×5, first 2 shown]
	ds_store_2addr_b64 v93, v[31:32], v[39:40] offset0:30 offset1:31
	ds_store_2addr_b64 v93, v[35:36], v[41:42] offset0:50 offset1:51
	;; [unrolled: 1-line block ×4, first 2 shown]
	global_wb scope:SCOPE_SE
	s_wait_dscnt 0x0
	s_barrier_signal -1
	s_barrier_wait -1
	global_inv scope:SCOPE_SE
	ds_load_b128 v[3:6], v94
	ds_load_b128 v[7:10], v95 offset:80
	ds_load_b128 v[11:14], v95 offset:160
	;; [unrolled: 1-line block ×9, first 2 shown]
	v_lshlrev_b64_e32 v[55:56], 4, v[1:2]
	v_add_nc_u32_e32 v1, s0, v1
	v_add_co_u32 v51, vcc_lo, v96, v51
	s_wait_alu 0xfffd
	v_add_co_ci_u32_e32 v52, vcc_lo, v97, v52, vcc_lo
	s_delay_alu instid0(VALU_DEP_3) | instskip(SKIP_4) | instid1(VALU_DEP_3)
	v_lshlrev_b64_e32 v[57:58], 4, v[1:2]
	v_add_nc_u32_e32 v1, s0, v1
	v_add_co_u32 v43, vcc_lo, v96, v55
	s_wait_alu 0xfffd
	v_add_co_ci_u32_e32 v44, vcc_lo, v97, v56, vcc_lo
	v_lshlrev_b64_e32 v[0:1], 4, v[1:2]
	v_add_co_u32 v45, vcc_lo, v96, v57
	s_wait_alu 0xfffd
	v_add_co_ci_u32_e32 v46, vcc_lo, v97, v58, vcc_lo
	s_delay_alu instid0(VALU_DEP_3)
	v_add_co_u32 v0, vcc_lo, v96, v0
	s_wait_alu 0xfffd
	v_add_co_ci_u32_e32 v1, vcc_lo, v97, v1, vcc_lo
	s_wait_dscnt 0x9
	global_store_b128 v[77:78], v[3:6], off
	s_wait_dscnt 0x8
	global_store_b128 v[87:88], v[7:10], off
	;; [unrolled: 2-line block ×10, first 2 shown]
	s_nop 0
	s_sendmsg sendmsg(MSG_DEALLOC_VGPRS)
	s_endpgm
	.section	.rodata,"a",@progbits
	.p2align	6, 0x0
	.amdhsa_kernel fft_rtc_fwd_len50_factors_10_5_wgs_50_tpt_5_dp_op_CI_CI_sbrc_aligned
		.amdhsa_group_segment_fixed_size 0
		.amdhsa_private_segment_fixed_size 0
		.amdhsa_kernarg_size 104
		.amdhsa_user_sgpr_count 2
		.amdhsa_user_sgpr_dispatch_ptr 0
		.amdhsa_user_sgpr_queue_ptr 0
		.amdhsa_user_sgpr_kernarg_segment_ptr 1
		.amdhsa_user_sgpr_dispatch_id 0
		.amdhsa_user_sgpr_private_segment_size 0
		.amdhsa_wavefront_size32 1
		.amdhsa_uses_dynamic_stack 0
		.amdhsa_enable_private_segment 0
		.amdhsa_system_sgpr_workgroup_id_x 1
		.amdhsa_system_sgpr_workgroup_id_y 0
		.amdhsa_system_sgpr_workgroup_id_z 0
		.amdhsa_system_sgpr_workgroup_info 0
		.amdhsa_system_vgpr_workitem_id 0
		.amdhsa_next_free_vgpr 98
		.amdhsa_next_free_sgpr 50
		.amdhsa_reserve_vcc 1
		.amdhsa_float_round_mode_32 0
		.amdhsa_float_round_mode_16_64 0
		.amdhsa_float_denorm_mode_32 3
		.amdhsa_float_denorm_mode_16_64 3
		.amdhsa_fp16_overflow 0
		.amdhsa_workgroup_processor_mode 1
		.amdhsa_memory_ordered 1
		.amdhsa_forward_progress 0
		.amdhsa_round_robin_scheduling 0
		.amdhsa_exception_fp_ieee_invalid_op 0
		.amdhsa_exception_fp_denorm_src 0
		.amdhsa_exception_fp_ieee_div_zero 0
		.amdhsa_exception_fp_ieee_overflow 0
		.amdhsa_exception_fp_ieee_underflow 0
		.amdhsa_exception_fp_ieee_inexact 0
		.amdhsa_exception_int_div_zero 0
	.end_amdhsa_kernel
	.text
.Lfunc_end0:
	.size	fft_rtc_fwd_len50_factors_10_5_wgs_50_tpt_5_dp_op_CI_CI_sbrc_aligned, .Lfunc_end0-fft_rtc_fwd_len50_factors_10_5_wgs_50_tpt_5_dp_op_CI_CI_sbrc_aligned
                                        ; -- End function
	.section	.AMDGPU.csdata,"",@progbits
; Kernel info:
; codeLenInByte = 5468
; NumSgprs: 52
; NumVgprs: 98
; ScratchSize: 0
; MemoryBound: 0
; FloatMode: 240
; IeeeMode: 1
; LDSByteSize: 0 bytes/workgroup (compile time only)
; SGPRBlocks: 6
; VGPRBlocks: 12
; NumSGPRsForWavesPerEU: 52
; NumVGPRsForWavesPerEU: 98
; Occupancy: 12
; WaveLimiterHint : 1
; COMPUTE_PGM_RSRC2:SCRATCH_EN: 0
; COMPUTE_PGM_RSRC2:USER_SGPR: 2
; COMPUTE_PGM_RSRC2:TRAP_HANDLER: 0
; COMPUTE_PGM_RSRC2:TGID_X_EN: 1
; COMPUTE_PGM_RSRC2:TGID_Y_EN: 0
; COMPUTE_PGM_RSRC2:TGID_Z_EN: 0
; COMPUTE_PGM_RSRC2:TIDIG_COMP_CNT: 0
	.text
	.p2alignl 7, 3214868480
	.fill 96, 4, 3214868480
	.type	__hip_cuid_ebb007a7ad6fa873,@object ; @__hip_cuid_ebb007a7ad6fa873
	.section	.bss,"aw",@nobits
	.globl	__hip_cuid_ebb007a7ad6fa873
__hip_cuid_ebb007a7ad6fa873:
	.byte	0                               ; 0x0
	.size	__hip_cuid_ebb007a7ad6fa873, 1

	.ident	"AMD clang version 19.0.0git (https://github.com/RadeonOpenCompute/llvm-project roc-6.4.0 25133 c7fe45cf4b819c5991fe208aaa96edf142730f1d)"
	.section	".note.GNU-stack","",@progbits
	.addrsig
	.addrsig_sym __hip_cuid_ebb007a7ad6fa873
	.amdgpu_metadata
---
amdhsa.kernels:
  - .args:
      - .actual_access:  read_only
        .address_space:  global
        .offset:         0
        .size:           8
        .value_kind:     global_buffer
      - .offset:         8
        .size:           8
        .value_kind:     by_value
      - .actual_access:  read_only
        .address_space:  global
        .offset:         16
        .size:           8
        .value_kind:     global_buffer
      - .actual_access:  read_only
        .address_space:  global
        .offset:         24
        .size:           8
        .value_kind:     global_buffer
      - .actual_access:  read_only
        .address_space:  global
        .offset:         32
        .size:           8
        .value_kind:     global_buffer
      - .offset:         40
        .size:           8
        .value_kind:     by_value
      - .actual_access:  read_only
        .address_space:  global
        .offset:         48
        .size:           8
        .value_kind:     global_buffer
      - .actual_access:  read_only
        .address_space:  global
        .offset:         56
        .size:           8
        .value_kind:     global_buffer
      - .offset:         64
        .size:           4
        .value_kind:     by_value
      - .actual_access:  read_only
        .address_space:  global
        .offset:         72
        .size:           8
        .value_kind:     global_buffer
      - .actual_access:  read_only
        .address_space:  global
        .offset:         80
        .size:           8
        .value_kind:     global_buffer
      - .actual_access:  read_only
        .address_space:  global
        .offset:         88
        .size:           8
        .value_kind:     global_buffer
      - .actual_access:  write_only
        .address_space:  global
        .offset:         96
        .size:           8
        .value_kind:     global_buffer
    .group_segment_fixed_size: 0
    .kernarg_segment_align: 8
    .kernarg_segment_size: 104
    .language:       OpenCL C
    .language_version:
      - 2
      - 0
    .max_flat_workgroup_size: 50
    .name:           fft_rtc_fwd_len50_factors_10_5_wgs_50_tpt_5_dp_op_CI_CI_sbrc_aligned
    .private_segment_fixed_size: 0
    .sgpr_count:     52
    .sgpr_spill_count: 0
    .symbol:         fft_rtc_fwd_len50_factors_10_5_wgs_50_tpt_5_dp_op_CI_CI_sbrc_aligned.kd
    .uniform_work_group_size: 1
    .uses_dynamic_stack: false
    .vgpr_count:     98
    .vgpr_spill_count: 0
    .wavefront_size: 32
    .workgroup_processor_mode: 1
amdhsa.target:   amdgcn-amd-amdhsa--gfx1201
amdhsa.version:
  - 1
  - 2
...

	.end_amdgpu_metadata
